;; amdgpu-corpus repo=ROCm/rocFFT kind=compiled arch=gfx1030 opt=O3
	.text
	.amdgcn_target "amdgcn-amd-amdhsa--gfx1030"
	.amdhsa_code_object_version 6
	.protected	fft_rtc_back_len243_factors_3_3_3_3_3_wgs_216_tpt_27_dp_op_CI_CI_sbrc_xy_z_diag ; -- Begin function fft_rtc_back_len243_factors_3_3_3_3_3_wgs_216_tpt_27_dp_op_CI_CI_sbrc_xy_z_diag
	.globl	fft_rtc_back_len243_factors_3_3_3_3_3_wgs_216_tpt_27_dp_op_CI_CI_sbrc_xy_z_diag
	.p2align	8
	.type	fft_rtc_back_len243_factors_3_3_3_3_3_wgs_216_tpt_27_dp_op_CI_CI_sbrc_xy_z_diag,@function
fft_rtc_back_len243_factors_3_3_3_3_3_wgs_216_tpt_27_dp_op_CI_CI_sbrc_xy_z_diag: ; @fft_rtc_back_len243_factors_3_3_3_3_3_wgs_216_tpt_27_dp_op_CI_CI_sbrc_xy_z_diag
; %bb.0:
	s_load_dwordx8 s[8:15], s[4:5], 0x0
	v_mul_u32_u24_e32 v7, 0x10e, v0
	v_add_nc_u32_e32 v1, 0xd8, v0
	v_add_nc_u32_e32 v4, 0x1b0, v0
	;; [unrolled: 1-line block ×4, first 2 shown]
	v_lshrrev_b32_e32 v11, 16, v7
	v_mul_u32_u24_e32 v7, 0x10e, v1
	v_add_nc_u32_e32 v10, 0x438, v0
	v_mul_u32_u24_e32 v12, 0x437, v4
	v_mul_u32_u24_e32 v13, 0x437, v6
	;; [unrolled: 1-line block ×3, first 2 shown]
	v_lshrrev_b32_e32 v18, 16, v7
	v_mul_u32_u24_e32 v15, 0x437, v10
	v_lshrrev_b32_e32 v25, 18, v12
	v_lshrrev_b32_e32 v26, 18, v13
	v_lshrrev_b32_e32 v32, 18, v14
	v_mul_lo_u16 v17, 0xf3, v11
	v_lshrrev_b32_e32 v33, 18, v15
	v_mul_lo_u16 v12, 0xf3, v18
	s_waitcnt lgkmcnt(0)
	s_load_dwordx4 s[16:19], s[12:13], 0x8
	s_clause 0x1
	s_load_dwordx4 s[0:3], s[4:5], 0x58
	s_load_dwordx2 s[12:13], s[4:5], 0x20
	s_clause 0x1
	s_load_dwordx4 s[20:23], s[14:15], 0x0
	s_load_dword s25, s[14:15], 0x10
	v_mul_lo_u16 v13, 0xf3, v26
	v_mul_lo_u16 v14, 0xf3, v32
	v_mul_lo_u16 v15, 0xf3, v33
	v_sub_nc_u16 v1, v1, v12
	v_add_nc_u32_e32 v3, 0x510, v0
	v_sub_nc_u16 v6, v6, v13
	v_mov_b32_e32 v2, 0
	v_add_nc_u32_e32 v5, 0x5e8, v0
	v_and_b32_e32 v20, 0xffff, v1
	v_mul_u32_u24_e32 v16, 0x437, v3
	v_and_b32_e32 v22, 0xffff, v6
	s_mov_b32 s7, 0
	v_add_nc_u32_e32 v30, 0x6c0, v0
	v_mul_u32_u24_e32 v31, 0x437, v5
	v_lshrrev_b32_e32 v34, 18, v16
	s_waitcnt lgkmcnt(0)
	s_add_i32 s4, s18, -1
	v_mad_u64_u32 v[12:13], null, s20, v22, 0
	s_lshr_b32 s4, s4, 3
	v_mul_lo_u32 v1, s25, v11
	s_add_i32 s4, s4, 1
	v_mul_lo_u16 v36, 0xf3, v34
	s_mul_i32 s4, s4, s16
	v_cvt_f32_u32_e32 v9, s4
	s_sub_i32 s16, 0, s4
	v_rcp_iflag_f32_e32 v9, v9
	v_mul_f32_e32 v9, 0x4f7ffffe, v9
	v_cvt_u32_f32_e32 v7, v9
	v_sub_nc_u16 v9, v0, v17
	v_lshlrev_b64 v[16:17], 4, v[1:2]
	v_mul_lo_u32 v1, s25, v18
	v_readfirstlane_b32 s5, v7
	v_mul_lo_u16 v7, 0xf3, v25
	v_and_b32_e32 v19, 0xffff, v9
	s_mul_i32 s16, s16, s5
	v_sub_nc_u16 v4, v4, v7
	s_mul_hi_u32 s16, s5, s16
	v_sub_nc_u16 v7, v8, v14
	s_add_i32 s5, s5, s16
	s_load_dwordx4 s[16:19], s[12:13], 0x0
	s_mul_hi_u32 s5, s6, s5
	v_sub_nc_u16 v8, v10, v15
	s_mul_i32 s23, s5, s4
	s_add_i32 s24, s5, 1
	s_sub_i32 s23, s6, s23
	v_and_b32_e32 v21, 0xffff, v4
	s_sub_i32 s26, s23, s4
	s_cmp_ge_u32 s23, s4
	v_and_b32_e32 v23, 0xffff, v7
	s_cselect_b32 s5, s24, s5
	s_cselect_b32 s23, s26, s23
	s_add_i32 s24, s5, 1
	s_cmp_ge_u32 s23, s4
	v_mad_u64_u32 v[6:7], null, s20, v19, 0
	s_cselect_b32 s23, s24, s5
	s_lshl_b64 s[10:11], s[10:11], 3
	s_mul_i32 s4, s23, s4
	v_and_b32_e32 v35, 0xffff, v8
	s_sub_i32 s4, s6, s4
	v_mad_u64_u32 v[8:9], null, s20, v20, 0
	s_mul_hi_u32 s5, s4, 0x2f684bdb
	v_mad_u64_u32 v[10:11], null, s20, v21, 0
	s_sub_i32 s6, s4, s5
	v_mad_u64_u32 v[14:15], null, s20, v23, 0
	s_lshr_b32 s6, s6, 1
	s_waitcnt lgkmcnt(0)
	s_load_dword s19, s[12:13], 0x10
	s_add_i32 s6, s6, s5
	v_mov_b32_e32 v4, v7
	s_lshr_b32 s5, s6, 4
	v_mov_b32_e32 v7, v9
	s_mul_i32 s6, s5, 27
	v_mov_b32_e32 v9, v11
	s_sub_i32 s4, s4, s6
	v_mov_b32_e32 v11, v13
	s_add_i32 s5, s5, s4
	s_lshl_b32 s4, s4, 3
	s_mul_hi_u32 s6, s5, 0x86d90545
	s_mul_i32 s26, s4, s25
	s_lshr_b32 s6, s6, 7
	s_mul_i32 s27, s17, s4
	s_mulk_i32 s6, 0xf3
	v_mov_b32_e32 v13, v15
	s_sub_i32 s24, s5, s6
	s_mul_hi_u32 s5, s16, s4
	s_mul_i32 s6, s24, s22
	s_add_i32 s5, s5, s27
	s_add_i32 s6, s6, s26
	s_add_u32 s14, s14, s10
	s_addc_u32 s15, s15, s11
	v_mad_u64_u32 v[18:19], null, s21, v19, v[4:5]
	s_load_dwordx2 s[14:15], s[14:15], 0x0
	v_mad_u64_u32 v[19:20], null, s21, v20, v[7:8]
	v_mad_u64_u32 v[20:21], null, s21, v21, v[9:10]
	;; [unrolled: 1-line block ×4, first 2 shown]
	v_lshlrev_b64 v[23:24], 4, v[1:2]
	v_mul_lo_u32 v1, s25, v25
	v_mov_b32_e32 v7, v18
	v_mad_u64_u32 v[27:28], null, s20, v35, 0
	v_mov_b32_e32 v9, v19
	v_mov_b32_e32 v11, v20
	v_lshlrev_b64 v[6:7], 4, v[6:7]
	v_mov_b32_e32 v15, v22
	v_lshlrev_b64 v[18:19], 4, v[1:2]
	v_mul_lo_u32 v1, s25, v26
	s_waitcnt lgkmcnt(0)
	s_mul_i32 s15, s15, s23
	s_mul_hi_u32 s22, s14, s23
	s_mul_i32 s14, s14, s23
	s_add_i32 s15, s22, s15
	s_add_u32 s10, s12, s10
	s_addc_u32 s11, s13, s11
	v_lshlrev_b64 v[8:9], 4, v[8:9]
	s_load_dwordx2 s[10:11], s[10:11], 0x0
	s_lshl_b64 s[12:13], s[14:15], 4
	v_mov_b32_e32 v13, v21
	v_mov_b32_e32 v4, v28
	v_lshlrev_b64 v[10:11], 4, v[10:11]
	v_lshlrev_b64 v[28:29], 4, v[14:15]
	;; [unrolled: 1-line block ×4, first 2 shown]
	s_mul_i32 s4, s16, s4
	s_mul_i32 s14, s18, 27
	s_waitcnt lgkmcnt(0)
	s_mul_i32 s11, s11, s23
	s_mul_hi_u32 s22, s10, s23
	s_mul_i32 s10, s10, s23
	s_add_i32 s11, s22, s11
	s_add_u32 s12, s0, s12
	s_addc_u32 s13, s1, s13
	s_lshl_b64 s[0:1], s[6:7], 4
	s_mul_i32 s6, s24, s19
	s_add_u32 s0, s12, s0
	s_addc_u32 s1, s13, s1
	v_add_co_u32 v1, vcc_lo, s0, v6
	v_add_co_ci_u32_e32 v7, vcc_lo, s1, v7, vcc_lo
	v_add_co_u32 v8, vcc_lo, s0, v8
	v_add_co_ci_u32_e32 v9, vcc_lo, s1, v9, vcc_lo
	;; [unrolled: 2-line block ×8, first 2 shown]
	s_clause 0x3
	global_load_dwordx4 v[11:14], v[6:7], off
	global_load_dwordx4 v[15:18], v[8:9], off
	;; [unrolled: 1-line block ×4, first 2 shown]
	v_mad_u64_u32 v[6:7], null, s21, v35, v[4:5]
	v_mul_lo_u32 v1, s25, v32
	v_sub_nc_u16 v7, v3, v36
	v_lshrrev_b32_e32 v10, 18, v31
	v_mul_u32_u24_e32 v8, 0x437, v30
	v_add_co_u32 v9, vcc_lo, s0, v28
	v_and_b32_e32 v31, 0xffff, v7
	v_mov_b32_e32 v28, v6
	v_lshlrev_b64 v[3:4], 4, v[1:2]
	v_mul_lo_u16 v1, 0xf3, v10
	v_lshrrev_b32_e32 v37, 18, v8
	v_mad_u64_u32 v[6:7], null, s20, v31, 0
	v_add_co_ci_u32_e32 v29, vcc_lo, s1, v29, vcc_lo
	v_sub_nc_u16 v5, v5, v1
	v_mul_lo_u16 v1, 0xf3, v37
	v_add_co_u32 v3, vcc_lo, v9, v3
	v_add_co_ci_u32_e32 v4, vcc_lo, v29, v4, vcc_lo
	v_sub_nc_u16 v29, v30, v1
	v_and_b32_e32 v32, 0xffff, v5
	v_mov_b32_e32 v5, v7
	v_lshlrev_b64 v[8:9], 4, v[27:28]
	v_mul_lo_u32 v1, s25, v33
	v_and_b32_e32 v35, 0xffff, v29
	v_mad_u64_u32 v[27:28], null, s20, v32, 0
	v_mad_u64_u32 v[29:30], null, s21, v31, v[5:6]
	v_mad_u64_u32 v[30:31], null, s20, v35, 0
	v_add_co_u32 v33, vcc_lo, s0, v8
	v_mov_b32_e32 v5, v28
	v_add_co_ci_u32_e32 v36, vcc_lo, s1, v9, vcc_lo
	v_mov_b32_e32 v7, v29
	v_lshlrev_b64 v[8:9], 4, v[1:2]
	v_mad_u64_u32 v[28:29], null, s21, v32, v[5:6]
	v_mul_lo_u32 v1, s25, v34
	v_lshlrev_b64 v[6:7], 4, v[6:7]
	v_mov_b32_e32 v5, v31
	v_add_co_u32 v8, vcc_lo, v33, v8
	v_add_co_ci_u32_e32 v9, vcc_lo, v36, v9, vcc_lo
	v_mad_u64_u32 v[34:35], null, s21, v35, v[5:6]
	v_lshlrev_b64 v[32:33], 4, v[1:2]
	v_mul_lo_u32 v1, s25, v10
	v_add_co_u32 v10, vcc_lo, s0, v6
	v_add_co_ci_u32_e32 v7, vcc_lo, s1, v7, vcc_lo
	v_mov_b32_e32 v31, v34
	v_lshlrev_b64 v[5:6], 4, v[27:28]
	v_add_co_u32 v35, vcc_lo, v10, v32
	v_lshlrev_b64 v[27:28], 4, v[1:2]
	v_mul_lo_u32 v1, s25, v37
	v_lshlrev_b64 v[29:30], 4, v[30:31]
	v_add_co_ci_u32_e32 v36, vcc_lo, v7, v33, vcc_lo
	v_add_co_u32 v7, vcc_lo, s0, v5
	v_add_co_ci_u32_e32 v10, vcc_lo, s1, v6, vcc_lo
	v_add_co_u32 v29, vcc_lo, s0, v29
	v_lshlrev_b64 v[5:6], 4, v[1:2]
	v_add_co_ci_u32_e32 v30, vcc_lo, s1, v30, vcc_lo
	v_add_co_u32 v39, vcc_lo, v7, v27
	v_add_co_ci_u32_e32 v40, vcc_lo, v10, v28, vcc_lo
	v_add_co_u32 v5, vcc_lo, v29, v5
	v_add_co_ci_u32_e32 v6, vcc_lo, v30, v6, vcc_lo
	s_clause 0x4
	global_load_dwordx4 v[27:30], v[3:4], off
	global_load_dwordx4 v[31:34], v[8:9], off
	;; [unrolled: 1-line block ×5, first 2 shown]
	v_mul_u32_u24_e32 v1, 0x97c, v0
	v_mov_b32_e32 v7, 4
	v_lshl_add_u32 v5, v0, 4, 0
	s_mov_b32 s0, 0xe8584caa
	s_mov_b32 s1, 0xbfebb67a
	v_lshrrev_b32_e32 v1, 16, v1
	s_mov_b32 s13, 0x3febb67a
	s_mov_b32 s12, s0
	s_waitcnt vmcnt(8)
	ds_write_b128 v5, v[11:14]
	s_waitcnt vmcnt(7)
	ds_write_b128 v5, v[15:18] offset:3456
	s_waitcnt vmcnt(6)
	ds_write_b128 v5, v[19:22] offset:6912
	;; [unrolled: 2-line block ×8, first 2 shown]
	v_and_b32_e32 v3, 7, v1
	v_mul_lo_u16 v1, v1, 27
	s_waitcnt lgkmcnt(0)
	s_barrier
	buffer_gl0_inv
	v_mul_lo_u16 v3, 0xf3, v3
	v_sub_nc_u16 v10, v0, v1
	v_lshlrev_b32_sdwa v8, v7, v3 dst_sel:DWORD dst_unused:UNUSED_PAD src0_sel:DWORD src1_sel:WORD_0
	v_lshlrev_b32_sdwa v1, v7, v10 dst_sel:DWORD dst_unused:UNUSED_PAD src0_sel:DWORD src1_sel:WORD_0
	v_add_nc_u32_e32 v4, 0, v8
	v_add3_u32 v3, 0, v1, v8
	v_add_nc_u32_e32 v1, v4, v1
	ds_read_b128 v[11:14], v1
	ds_read_b128 v[15:18], v3 offset:1296
	ds_read_b128 v[19:22], v3 offset:2592
	;; [unrolled: 1-line block ×8, first 2 shown]
	s_waitcnt lgkmcnt(0)
	s_barrier
	buffer_gl0_inv
	v_add_f64 v[5:6], v[11:12], v[15:16]
	v_add_f64 v[47:48], v[13:14], v[17:18]
	;; [unrolled: 1-line block ×6, first 2 shown]
	v_add_f64 v[59:60], v[15:16], -v[19:20]
	v_add_f64 v[57:58], v[17:18], -v[21:22]
	v_add_f64 v[61:62], v[35:36], v[39:40]
	v_add_f64 v[63:64], v[25:26], -v[29:30]
	v_add_f64 v[65:66], v[23:24], -v[27:28]
	;; [unrolled: 1-line block ×4, first 2 shown]
	v_add_f64 v[15:16], v[5:6], v[19:20]
	v_add_f64 v[5:6], v[39:40], v[43:44]
	;; [unrolled: 1-line block ×5, first 2 shown]
	v_fma_f64 v[47:48], v[49:50], -0.5, v[11:12]
	v_fma_f64 v[49:50], v[51:52], -0.5, v[13:14]
	v_add_f64 v[51:52], v[33:34], v[25:26]
	v_fma_f64 v[53:54], v[53:54], -0.5, v[31:32]
	v_add_f64 v[31:32], v[37:38], v[41:42]
	v_fma_f64 v[55:56], v[55:56], -0.5, v[33:34]
	v_and_b32_e32 v13, 0xff, v10
	v_add_f64 v[23:24], v[61:62], v[43:44]
	v_mov_b32_e32 v11, 5
	v_mul_lo_u16 v9, 0xab, v13
	v_mul_lo_u16 v13, v13, 57
	v_lshrrev_b16 v14, 9, v9
	v_fma_f64 v[71:72], v[5:6], -0.5, v[35:36]
	v_fma_f64 v[73:74], v[19:20], -0.5, v[37:38]
	v_lshlrev_b32_sdwa v5, v11, v10 dst_sel:DWORD dst_unused:UNUSED_PAD src0_sel:DWORD src1_sel:WORD_0
	v_add_f64 v[19:20], v[21:22], v[27:28]
	v_fma_f64 v[27:28], v[57:58], s[0:1], v[47:48]
	v_fma_f64 v[33:34], v[59:60], s[0:1], v[49:50]
	v_add_f64 v[21:22], v[51:52], v[29:30]
	v_fma_f64 v[29:30], v[59:60], s[12:13], v[49:50]
	v_add_f64 v[25:26], v[31:32], v[45:46]
	v_fma_f64 v[31:32], v[57:58], s[12:13], v[47:48]
	v_fma_f64 v[35:36], v[63:64], s[0:1], v[53:54]
	;; [unrolled: 1-line block ×5, first 2 shown]
	v_mul_lo_u16 v6, v14, 3
	v_add_nc_u32_e32 v9, v3, v5
	v_lshrrev_b16 v65, 9, v13
	v_and_b32_e32 v13, 0xffff, v14
	v_sub_nc_u16 v60, v10, v6
	v_add_nc_u32_e32 v6, 0x800, v9
	v_mul_lo_u16 v14, v65, 9
	v_fma_f64 v[43:44], v[67:68], s[0:1], v[71:72]
	v_fma_f64 v[47:48], v[69:70], s[12:13], v[73:74]
	;; [unrolled: 1-line block ×4, first 2 shown]
	v_lshlrev_b32_sdwa v12, v11, v60 dst_sel:DWORD dst_unused:UNUSED_PAD src0_sel:DWORD src1_sel:BYTE_0
	ds_write_b128 v9, v[15:18]
	ds_write_b128 v9, v[19:22] offset:1296
	ds_write_b128 v9, v[23:26] offset:2592
	;; [unrolled: 1-line block ×6, first 2 shown]
	ds_write2_b64 v6, v[43:44], v[47:48] offset0:70 offset1:71
	ds_write2_b64 v6, v[45:46], v[49:50] offset0:72 offset1:73
	s_waitcnt lgkmcnt(0)
	s_barrier
	buffer_gl0_inv
	s_clause 0x1
	global_load_dwordx4 v[16:19], v12, s[8:9]
	global_load_dwordx4 v[20:23], v12, s[8:9] offset:16
	v_mov_b32_e32 v6, 27
	v_mad_u32_u24 v13, 0x90, v13, 0
	v_sub_nc_u16 v66, v10, v14
	v_add_nc_u32_sdwa v6, v10, v6 dst_sel:DWORD dst_unused:UNUSED_PAD src0_sel:WORD_0 src1_sel:DWORD
	v_and_b32_e32 v15, 0xff, v6
	v_mul_lo_u16 v9, 0xab, v15
	v_lshrrev_b16 v61, 9, v9
	v_mul_lo_u16 v9, v61, 3
	v_sub_nc_u16 v62, v6, v9
	v_lshlrev_b32_sdwa v9, v11, v62 dst_sel:DWORD dst_unused:UNUSED_PAD src0_sel:DWORD src1_sel:BYTE_0
	s_clause 0x1
	global_load_dwordx4 v[24:27], v9, s[8:9]
	global_load_dwordx4 v[28:31], v9, s[8:9] offset:16
	ds_read_b128 v[32:35], v3 offset:1296
	ds_read_b128 v[36:39], v3 offset:864
	;; [unrolled: 1-line block ×3, first 2 shown]
	v_mov_b32_e32 v9, 54
	ds_read_b128 v[44:47], v3 offset:3024
	v_add_nc_u32_sdwa v9, v10, v9 dst_sel:DWORD dst_unused:UNUSED_PAD src0_sel:WORD_0 src1_sel:DWORD
	v_lshlrev_b32_sdwa v10, v7, v60 dst_sel:DWORD dst_unused:UNUSED_PAD src0_sel:DWORD src1_sel:BYTE_0
	v_and_b32_e32 v12, 0xff, v9
	v_add3_u32 v10, v13, v10, v8
	v_mul_lo_u16 v52, 0xab, v12
	v_lshrrev_b16 v63, 9, v52
	s_waitcnt vmcnt(3) lgkmcnt(3)
	v_mul_f64 v[48:49], v[34:35], v[18:19]
	v_mul_f64 v[18:19], v[32:33], v[18:19]
	s_waitcnt vmcnt(2) lgkmcnt(1)
	v_mul_f64 v[50:51], v[42:43], v[22:23]
	v_mul_f64 v[22:23], v[40:41], v[22:23]
	v_fma_f64 v[32:33], v[32:33], v[16:17], v[48:49]
	v_fma_f64 v[34:35], v[34:35], v[16:17], -v[18:19]
	ds_read_b128 v[16:19], v3 offset:1728
	v_fma_f64 v[40:41], v[40:41], v[20:21], v[50:51]
	v_fma_f64 v[42:43], v[42:43], v[20:21], -v[22:23]
	ds_read_b128 v[20:23], v3 offset:2160
	v_mul_lo_u16 v50, v63, 3
	v_sub_nc_u16 v64, v9, v50
	v_lshlrev_b32_sdwa v52, v11, v64 dst_sel:DWORD dst_unused:UNUSED_PAD src0_sel:DWORD src1_sel:BYTE_0
	s_waitcnt vmcnt(1) lgkmcnt(1)
	v_mul_f64 v[48:49], v[18:19], v[26:27]
	v_mul_f64 v[26:27], v[16:17], v[26:27]
	v_fma_f64 v[48:49], v[16:17], v[24:25], v[48:49]
	v_fma_f64 v[50:51], v[18:19], v[24:25], -v[26:27]
	global_load_dwordx4 v[16:19], v52, s[8:9]
	s_waitcnt vmcnt(1)
	v_mul_f64 v[24:25], v[46:47], v[30:31]
	v_mul_f64 v[26:27], v[44:45], v[30:31]
	v_fma_f64 v[44:45], v[44:45], v[28:29], v[24:25]
	v_fma_f64 v[46:47], v[46:47], v[28:29], -v[26:27]
	global_load_dwordx4 v[24:27], v52, s[8:9] offset:16
	s_waitcnt vmcnt(1) lgkmcnt(0)
	v_mul_f64 v[28:29], v[22:23], v[18:19]
	v_mul_f64 v[18:19], v[20:21], v[18:19]
	v_fma_f64 v[52:53], v[20:21], v[16:17], v[28:29]
	v_fma_f64 v[54:55], v[22:23], v[16:17], -v[18:19]
	ds_read_b128 v[16:19], v3 offset:3456
	v_add_f64 v[28:29], v[34:35], -v[42:43]
	s_waitcnt vmcnt(0) lgkmcnt(0)
	v_mul_f64 v[20:21], v[18:19], v[26:27]
	v_mul_f64 v[22:23], v[16:17], v[26:27]
	v_add_f64 v[26:27], v[32:33], v[40:41]
	v_fma_f64 v[56:57], v[16:17], v[24:25], v[20:21]
	v_fma_f64 v[58:59], v[18:19], v[24:25], -v[22:23]
	v_add_f64 v[24:25], v[34:35], v[42:43]
	ds_read_b128 v[16:19], v1
	ds_read_b128 v[20:23], v3 offset:432
	s_waitcnt lgkmcnt(0)
	s_barrier
	buffer_gl0_inv
	v_fma_f64 v[26:27], v[26:27], -0.5, v[16:17]
	v_add_f64 v[16:17], v[16:17], v[32:33]
	v_fma_f64 v[30:31], v[24:25], -0.5, v[18:19]
	v_add_f64 v[32:33], v[32:33], -v[40:41]
	v_add_f64 v[18:19], v[18:19], v[34:35]
	v_fma_f64 v[24:25], v[28:29], s[0:1], v[26:27]
	v_fma_f64 v[28:29], v[28:29], s[12:13], v[26:27]
	v_add_f64 v[16:17], v[16:17], v[40:41]
	v_fma_f64 v[26:27], v[32:33], s[12:13], v[30:31]
	v_fma_f64 v[30:31], v[32:33], s[0:1], v[30:31]
	v_add_f64 v[32:33], v[48:49], v[44:45]
	v_add_f64 v[18:19], v[18:19], v[42:43]
	v_add_f64 v[40:41], v[50:51], -v[46:47]
	v_fma_f64 v[34:35], v[32:33], -0.5, v[20:21]
	v_add_f64 v[32:33], v[50:51], v[46:47]
	v_add_f64 v[20:21], v[20:21], v[48:49]
	v_fma_f64 v[42:43], v[32:33], -0.5, v[22:23]
	v_add_f64 v[20:21], v[20:21], v[44:45]
	v_add_f64 v[44:45], v[48:49], -v[44:45]
	v_add_f64 v[22:23], v[22:23], v[50:51]
	v_fma_f64 v[32:33], v[40:41], s[0:1], v[34:35]
	v_fma_f64 v[40:41], v[40:41], s[12:13], v[34:35]
	v_add_f64 v[48:49], v[54:55], -v[58:59]
	v_fma_f64 v[34:35], v[44:45], s[12:13], v[42:43]
	v_fma_f64 v[42:43], v[44:45], s[0:1], v[42:43]
	v_add_f64 v[44:45], v[52:53], v[56:57]
	v_add_f64 v[22:23], v[22:23], v[46:47]
	v_fma_f64 v[46:47], v[44:45], -0.5, v[36:37]
	v_add_f64 v[44:45], v[54:55], v[58:59]
	v_add_f64 v[36:37], v[36:37], v[52:53]
	v_add_f64 v[52:53], v[52:53], -v[56:57]
	v_fma_f64 v[50:51], v[44:45], -0.5, v[38:39]
	v_add_f64 v[38:39], v[38:39], v[54:55]
	v_add_f64 v[36:37], v[36:37], v[56:57]
	v_fma_f64 v[44:45], v[48:49], s[0:1], v[46:47]
	v_fma_f64 v[48:49], v[48:49], s[12:13], v[46:47]
	v_lshlrev_b32_sdwa v54, v7, v64 dst_sel:DWORD dst_unused:UNUSED_PAD src0_sel:DWORD src1_sel:BYTE_0
	v_lshlrev_b32_sdwa v55, v11, v66 dst_sel:DWORD dst_unused:UNUSED_PAD src0_sel:DWORD src1_sel:BYTE_0
	v_fma_f64 v[46:47], v[52:53], s[12:13], v[50:51]
	v_add_f64 v[38:39], v[38:39], v[58:59]
	v_fma_f64 v[50:51], v[52:53], s[0:1], v[50:51]
	v_and_b32_e32 v52, 0xffff, v61
	v_and_b32_e32 v53, 0xffff, v63
	v_mad_u32_u24 v14, 0x90, v52, 0
	v_mad_u32_u24 v52, 0x90, v53, 0
	v_lshlrev_b32_sdwa v53, v7, v62 dst_sel:DWORD dst_unused:UNUSED_PAD src0_sel:DWORD src1_sel:BYTE_0
	v_add3_u32 v13, v14, v53, v8
	v_add3_u32 v14, v52, v54, v8
	ds_write_b128 v10, v[16:19]
	ds_write_b128 v10, v[24:27] offset:48
	ds_write_b128 v10, v[28:31] offset:96
	ds_write_b128 v13, v[20:23]
	ds_write_b128 v13, v[32:35] offset:48
	ds_write_b128 v13, v[40:43] offset:96
	ds_write_b128 v14, v[36:39]
	ds_write_b128 v14, v[44:47] offset:48
	ds_write_b128 v14, v[48:51] offset:96
	s_waitcnt lgkmcnt(0)
	s_barrier
	buffer_gl0_inv
	global_load_dwordx4 v[16:19], v55, s[8:9] offset:96
	v_mul_lo_u16 v10, v15, 57
	global_load_dwordx4 v[20:23], v55, s[8:9] offset:112
	v_mul_lo_u16 v54, v12, 57
	v_lshrrev_b16 v64, 9, v10
	v_lshrrev_b16 v68, 9, v54
	v_mul_lo_u16 v10, v64, 9
	v_and_b32_e32 v64, 0xffff, v64
	v_sub_nc_u16 v67, v6, v10
	v_lshlrev_b32_sdwa v10, v11, v67 dst_sel:DWORD dst_unused:UNUSED_PAD src0_sel:DWORD src1_sel:BYTE_0
	global_load_dwordx4 v[24:27], v10, s[8:9] offset:96
	ds_read_b128 v[28:31], v3 offset:1296
	ds_read_b128 v[32:35], v3 offset:2592
	;; [unrolled: 1-line block ×3, first 2 shown]
	global_load_dwordx4 v[40:43], v10, s[8:9] offset:112
	v_mul_lo_u16 v10, v68, 9
	ds_read_b128 v[44:47], v3 offset:3024
	v_sub_nc_u16 v69, v9, v10
	v_lshlrev_b32_sdwa v54, v11, v69 dst_sel:DWORD dst_unused:UNUSED_PAD src0_sel:DWORD src1_sel:BYTE_0
	s_waitcnt vmcnt(3) lgkmcnt(3)
	v_mul_f64 v[13:14], v[30:31], v[18:19]
	v_mul_f64 v[18:19], v[28:29], v[18:19]
	s_waitcnt vmcnt(2) lgkmcnt(2)
	v_mul_f64 v[48:49], v[34:35], v[22:23]
	v_mul_f64 v[22:23], v[32:33], v[22:23]
	v_fma_f64 v[50:51], v[28:29], v[16:17], v[13:14]
	v_fma_f64 v[52:53], v[30:31], v[16:17], -v[18:19]
	ds_read_b128 v[13:16], v3 offset:1728
	ds_read_b128 v[28:31], v3 offset:2160
	v_fma_f64 v[10:11], v[32:33], v[20:21], v[48:49]
	v_fma_f64 v[32:33], v[34:35], v[20:21], -v[22:23]
	global_load_dwordx4 v[17:20], v54, s[8:9] offset:96
	s_waitcnt vmcnt(2) lgkmcnt(1)
	v_mul_f64 v[21:22], v[15:16], v[26:27]
	v_mul_f64 v[26:27], v[13:14], v[26:27]
	v_fma_f64 v[34:35], v[13:14], v[24:25], v[21:22]
	v_fma_f64 v[25:26], v[15:16], v[24:25], -v[26:27]
	global_load_dwordx4 v[13:16], v54, s[8:9] offset:112
	s_waitcnt vmcnt(2)
	v_mul_f64 v[21:22], v[46:47], v[42:43]
	v_mul_f64 v[23:24], v[44:45], v[42:43]
	v_fma_f64 v[42:43], v[44:45], v[40:41], v[21:22]
	v_fma_f64 v[40:41], v[46:47], v[40:41], -v[23:24]
	ds_read_b128 v[21:24], v3 offset:3456
	s_waitcnt vmcnt(1) lgkmcnt(1)
	v_mul_f64 v[44:45], v[30:31], v[19:20]
	v_mul_f64 v[19:20], v[28:29], v[19:20]
	v_fma_f64 v[27:28], v[28:29], v[17:18], v[44:45]
	v_fma_f64 v[29:30], v[30:31], v[17:18], -v[19:20]
	v_add_f64 v[44:45], v[50:51], v[10:11]
	s_waitcnt vmcnt(0) lgkmcnt(0)
	v_mul_f64 v[46:47], v[23:24], v[15:16]
	v_mul_f64 v[15:16], v[21:22], v[15:16]
	v_fma_f64 v[21:22], v[21:22], v[13:14], v[46:47]
	v_add_f64 v[46:47], v[52:53], v[32:33]
	v_fma_f64 v[23:24], v[23:24], v[13:14], -v[15:16]
	ds_read_b128 v[13:16], v1
	ds_read_b128 v[17:20], v3 offset:432
	s_waitcnt lgkmcnt(0)
	s_barrier
	buffer_gl0_inv
	v_add_f64 v[48:49], v[15:16], v[52:53]
	v_fma_f64 v[46:47], v[46:47], -0.5, v[15:16]
	v_add_f64 v[15:16], v[34:35], v[42:43]
	v_fma_f64 v[44:45], v[44:45], -0.5, v[13:14]
	v_add_f64 v[13:14], v[13:14], v[50:51]
	v_add_f64 v[52:53], v[52:53], -v[32:33]
	v_add_f64 v[62:63], v[27:28], -v[21:22]
	v_fma_f64 v[54:55], v[15:16], -0.5, v[17:18]
	v_add_f64 v[15:16], v[25:26], v[40:41]
	v_add_f64 v[13:14], v[13:14], v[10:11]
	v_add_f64 v[10:11], v[50:51], -v[10:11]
	v_add_f64 v[17:18], v[17:18], v[34:35]
	v_add_f64 v[50:51], v[29:30], -v[23:24]
	v_fma_f64 v[56:57], v[15:16], -0.5, v[19:20]
	v_add_f64 v[15:16], v[27:28], v[21:22]
	v_add_f64 v[19:20], v[19:20], v[25:26]
	;; [unrolled: 1-line block ×3, first 2 shown]
	v_fma_f64 v[58:59], v[15:16], -0.5, v[36:37]
	v_add_f64 v[15:16], v[29:30], v[23:24]
	v_add_f64 v[36:37], v[36:37], v[27:28]
	;; [unrolled: 1-line block ×3, first 2 shown]
	v_fma_f64 v[27:28], v[10:11], s[12:13], v[46:47]
	v_fma_f64 v[60:61], v[15:16], -0.5, v[38:39]
	v_add_f64 v[15:16], v[48:49], v[32:33]
	v_add_f64 v[48:49], v[25:26], -v[40:41]
	v_add_f64 v[40:41], v[34:35], -v[42:43]
	v_add_f64 v[38:39], v[38:39], v[29:30]
	v_and_b32_e32 v25, 0xffff, v65
	v_and_b32_e32 v65, 0xffff, v68
	v_fma_f64 v[29:30], v[52:53], s[12:13], v[44:45]
	v_fma_f64 v[31:32], v[10:11], s[0:1], v[46:47]
	v_add_f64 v[21:22], v[36:37], v[21:22]
	v_mad_u32_u24 v68, 0x1b0, v25, 0
	v_fma_f64 v[25:26], v[52:53], s[0:1], v[44:45]
	v_fma_f64 v[45:46], v[50:51], s[12:13], v[58:59]
	v_lshlrev_b32_sdwa v10, v7, v66 dst_sel:DWORD dst_unused:UNUSED_PAD src0_sel:DWORD src1_sel:BYTE_0
	v_mad_u32_u24 v11, 0x1b0, v64, 0
	v_add3_u32 v10, v68, v10, v8
	v_fma_f64 v[43:44], v[62:63], s[12:13], v[60:61]
	v_fma_f64 v[33:34], v[48:49], s[0:1], v[54:55]
	;; [unrolled: 1-line block ×3, first 2 shown]
	v_add_f64 v[23:24], v[38:39], v[23:24]
	v_fma_f64 v[37:38], v[48:49], s[12:13], v[54:55]
	v_fma_f64 v[39:40], v[40:41], s[0:1], v[56:57]
	;; [unrolled: 1-line block ×4, first 2 shown]
	v_lshlrev_b32_sdwa v50, v7, v67 dst_sel:DWORD dst_unused:UNUSED_PAD src0_sel:DWORD src1_sel:BYTE_0
	v_mad_u32_u24 v49, 0x1b0, v65, 0
	v_lshlrev_b32_sdwa v7, v7, v69 dst_sel:DWORD dst_unused:UNUSED_PAD src0_sel:DWORD src1_sel:BYTE_0
	v_add3_u32 v11, v11, v50, v8
	v_add3_u32 v7, v49, v7, v8
	ds_write_b128 v10, v[13:16]
	ds_write_b128 v10, v[25:28] offset:144
	ds_write_b128 v10, v[29:32] offset:288
	ds_write_b128 v11, v[17:20]
	ds_write_b128 v11, v[33:36] offset:144
	ds_write_b128 v11, v[37:40] offset:288
	;; [unrolled: 3-line block ×3, first 2 shown]
	s_waitcnt lgkmcnt(0)
	s_barrier
	buffer_gl0_inv
	s_clause 0x1
	global_load_dwordx4 v[13:16], v5, s[8:9] offset:384
	global_load_dwordx4 v[17:20], v5, s[8:9] offset:400
	v_mul_lo_u16 v7, v12, 19
	v_lshrrev_b16 v7, 9, v7
	v_mul_lo_u16 v7, v7, 27
	v_sub_nc_u16 v7, v9, v7
	v_and_b32_e32 v67, 0xff, v7
	v_lshlrev_b32_e32 v7, 5, v67
	s_clause 0x1
	global_load_dwordx4 v[21:24], v7, s[8:9] offset:384
	global_load_dwordx4 v[25:28], v7, s[8:9] offset:400
	ds_read_b128 v[29:32], v3 offset:1296
	ds_read_b128 v[33:36], v3 offset:1728
	;; [unrolled: 1-line block ×6, first 2 shown]
	v_lshl_add_u32 v4, v67, 4, v4
	s_waitcnt vmcnt(3) lgkmcnt(5)
	v_mul_f64 v[7:8], v[31:32], v[15:16]
	v_mul_f64 v[10:11], v[29:30], v[15:16]
	s_waitcnt lgkmcnt(4)
	v_mul_f64 v[53:54], v[35:36], v[15:16]
	v_mul_f64 v[15:16], v[33:34], v[15:16]
	s_waitcnt vmcnt(2) lgkmcnt(3)
	v_mul_f64 v[55:56], v[39:40], v[19:20]
	v_fma_f64 v[7:8], v[29:30], v[13:14], v[7:8]
	v_fma_f64 v[29:30], v[31:32], v[13:14], -v[10:11]
	v_mul_f64 v[31:32], v[37:38], v[19:20]
	v_fma_f64 v[33:34], v[33:34], v[13:14], v[53:54]
	v_fma_f64 v[35:36], v[35:36], v[13:14], -v[15:16]
	s_waitcnt lgkmcnt(0)
	v_mul_f64 v[14:15], v[51:52], v[19:20]
	ds_read_b128 v[10:13], v3 offset:3456
	v_mul_f64 v[19:20], v[49:50], v[19:20]
	v_fma_f64 v[37:38], v[37:38], v[17:18], v[55:56]
	s_waitcnt vmcnt(1)
	v_mul_f64 v[53:54], v[47:48], v[23:24]
	v_mul_f64 v[23:24], v[45:46], v[23:24]
	v_fma_f64 v[31:32], v[39:40], v[17:18], -v[31:32]
	s_waitcnt vmcnt(0) lgkmcnt(0)
	v_mul_f64 v[39:40], v[12:13], v[27:28]
	v_fma_f64 v[49:50], v[49:50], v[17:18], v[14:15]
	v_mul_f64 v[14:15], v[10:11], v[27:28]
	v_fma_f64 v[18:19], v[51:52], v[17:18], -v[19:20]
	v_fma_f64 v[27:28], v[45:46], v[21:22], v[53:54]
	v_fma_f64 v[20:21], v[47:48], v[21:22], -v[23:24]
	v_add_f64 v[45:46], v[29:30], v[31:32]
	v_fma_f64 v[22:23], v[10:11], v[25:26], v[39:40]
	v_add_f64 v[39:40], v[7:8], v[37:38]
	v_fma_f64 v[24:25], v[12:13], v[25:26], -v[14:15]
	v_add_f64 v[47:48], v[33:34], v[49:50]
	ds_read_b128 v[10:13], v1
	ds_read_b128 v[14:17], v3 offset:432
	v_add_f64 v[51:52], v[35:36], v[18:19]
	v_add_f64 v[61:62], v[41:42], v[27:28]
	s_waitcnt lgkmcnt(0)
	s_barrier
	buffer_gl0_inv
	v_add_f64 v[53:54], v[27:28], v[22:23]
	v_add_f64 v[57:58], v[10:11], v[7:8]
	;; [unrolled: 1-line block ×3, first 2 shown]
	v_fma_f64 v[39:40], v[39:40], -0.5, v[10:11]
	v_add_f64 v[10:11], v[12:13], v[29:30]
	v_add_f64 v[59:60], v[14:15], v[33:34]
	v_fma_f64 v[47:48], v[47:48], -0.5, v[14:15]
	v_add_f64 v[14:15], v[16:17], v[35:36]
	v_fma_f64 v[45:46], v[45:46], -0.5, v[12:13]
	v_add_f64 v[29:30], v[29:30], -v[31:32]
	v_add_f64 v[7:8], v[7:8], -v[37:38]
	v_fma_f64 v[51:52], v[51:52], -0.5, v[16:17]
	v_add_f64 v[35:36], v[35:36], -v[18:19]
	v_add_f64 v[63:64], v[20:21], -v[24:25]
	;; [unrolled: 1-line block ×3, first 2 shown]
	v_fma_f64 v[41:42], v[53:54], -0.5, v[41:42]
	v_fma_f64 v[53:54], v[55:56], -0.5, v[43:44]
	v_add_f64 v[43:44], v[43:44], v[20:21]
	v_add_f64 v[55:56], v[33:34], -v[49:50]
	v_add_f64 v[12:13], v[10:11], v[31:32]
	v_add_f64 v[10:11], v[57:58], v[37:38]
	;; [unrolled: 1-line block ×5, first 2 shown]
	v_fma_f64 v[22:23], v[29:30], s[0:1], v[39:40]
	v_fma_f64 v[26:27], v[29:30], s[12:13], v[39:40]
	;; [unrolled: 1-line block ×5, first 2 shown]
	v_lshrrev_b32_e32 v57, 3, v0
	v_fma_f64 v[38:39], v[63:64], s[0:1], v[41:42]
	v_add_f64 v[20:21], v[43:44], v[24:25]
	v_fma_f64 v[24:25], v[7:8], s[12:13], v[45:46]
	v_fma_f64 v[32:33], v[55:56], s[12:13], v[51:52]
	;; [unrolled: 1-line block ×6, first 2 shown]
	ds_write_b128 v3, v[10:13]
	ds_write_b128 v3, v[14:17] offset:1296
	ds_write_b128 v3, v[22:25] offset:432
	;; [unrolled: 1-line block ×8, first 2 shown]
	s_waitcnt lgkmcnt(0)
	s_barrier
	buffer_gl0_inv
	s_clause 0x1
	global_load_dwordx4 v[10:13], v5, s[8:9] offset:1248
	global_load_dwordx4 v[14:17], v5, s[8:9] offset:1264
	v_lshlrev_b32_e32 v8, 5, v6
	s_clause 0x1
	global_load_dwordx4 v[4:7], v8, s[8:9] offset:1248
	global_load_dwordx4 v[18:21], v8, s[8:9] offset:1264
	v_lshlrev_b32_e32 v8, 5, v9
	s_clause 0x1
	global_load_dwordx4 v[22:25], v8, s[8:9] offset:1248
	global_load_dwordx4 v[26:29], v8, s[8:9] offset:1264
	ds_read_b128 v[30:33], v3 offset:1296
	ds_read_b128 v[34:37], v3 offset:2592
	;; [unrolled: 1-line block ×5, first 2 shown]
	v_and_b32_e32 v56, 7, v0
	s_lshl_b64 s[8:9], s[10:11], 4
	s_add_u32 s8, s2, s8
	s_addc_u32 s9, s3, s9
	v_mul_u32_u24_e32 v58, 0xf30, v56
	s_lshl_b64 s[2:3], s[4:5], 4
	s_add_u32 s4, s8, s2
	s_addc_u32 s5, s9, s3
	s_lshl_b64 s[2:3], s[6:7], 4
	s_add_u32 s2, s4, s2
	s_addc_u32 s3, s5, s3
	s_waitcnt vmcnt(5) lgkmcnt(4)
	v_mul_f64 v[8:9], v[32:33], v[12:13]
	v_mul_f64 v[12:13], v[30:31], v[12:13]
	s_waitcnt vmcnt(4) lgkmcnt(3)
	v_mul_f64 v[50:51], v[36:37], v[16:17]
	v_mul_f64 v[16:17], v[34:35], v[16:17]
	;; [unrolled: 3-line block ×3, first 2 shown]
	v_fma_f64 v[30:31], v[30:31], v[10:11], v[8:9]
	v_fma_f64 v[32:33], v[32:33], v[10:11], -v[12:13]
	ds_read_b128 v[8:11], v3 offset:2160
	v_fma_f64 v[34:35], v[34:35], v[14:15], v[50:51]
	v_fma_f64 v[16:17], v[36:37], v[14:15], -v[16:17]
	ds_read_b128 v[12:15], v3 offset:3456
	s_waitcnt vmcnt(2) lgkmcnt(2)
	v_mul_f64 v[36:37], v[48:49], v[20:21]
	v_mul_f64 v[20:21], v[46:47], v[20:21]
	v_fma_f64 v[42:43], v[42:43], v[4:5], v[52:53]
	v_fma_f64 v[44:45], v[44:45], v[4:5], -v[6:7]
	ds_read_b128 v[4:7], v1
	v_mad_u64_u32 v[50:51], null, s16, v56, 0
	v_mov_b32_e32 v0, v51
	s_waitcnt vmcnt(1) lgkmcnt(2)
	v_mul_f64 v[52:53], v[10:11], v[24:25]
	v_mul_f64 v[24:25], v[8:9], v[24:25]
	s_waitcnt vmcnt(0) lgkmcnt(1)
	v_mul_f64 v[54:55], v[14:15], v[28:29]
	v_fma_f64 v[36:37], v[46:47], v[18:19], v[36:37]
	v_fma_f64 v[18:19], v[48:49], v[18:19], -v[20:21]
	v_mul_f64 v[20:21], v[12:13], v[28:29]
	v_add_f64 v[46:47], v[32:33], v[16:17]
	v_lshlrev_b32_e32 v28, 4, v57
	v_add3_u32 v64, 0, v58, v28
	v_add_f64 v[28:29], v[30:31], v[34:35]
	v_fma_f64 v[48:49], v[8:9], v[22:23], v[52:53]
	v_fma_f64 v[22:23], v[10:11], v[22:23], -v[24:25]
	ds_read_b128 v[8:11], v3 offset:432
	v_fma_f64 v[52:53], v[12:13], v[26:27], v[54:55]
	v_mad_u64_u32 v[0:1], null, s17, v56, v[0:1]
	v_mul_lo_u32 v1, v57, s18
	s_waitcnt lgkmcnt(1)
	v_add_f64 v[12:13], v[4:5], v[30:31]
	v_fma_f64 v[20:21], v[14:15], v[26:27], -v[20:21]
	v_add_f64 v[14:15], v[6:7], v[32:33]
	v_add_f64 v[56:57], v[44:45], v[18:19]
	v_add_f64 v[30:31], v[30:31], -v[34:35]
	v_fma_f64 v[46:47], v[46:47], -0.5, v[6:7]
	v_add_f64 v[32:33], v[32:33], -v[16:17]
	v_add_f64 v[54:55], v[42:43], v[36:37]
	v_mov_b32_e32 v51, v0
	v_fma_f64 v[28:29], v[28:29], -0.5, v[4:5]
	v_lshlrev_b64 v[24:25], 4, v[1:2]
	v_add_nc_u32_e32 v1, s14, v1
	v_add_nc_u32_e32 v0, 0x800, v3
	v_lshlrev_b64 v[50:51], 4, v[50:51]
	s_waitcnt lgkmcnt(0)
	s_barrier
	v_lshlrev_b64 v[26:27], 4, v[1:2]
	v_add_nc_u32_e32 v1, s14, v1
	v_add_f64 v[60:61], v[48:49], v[52:53]
	buffer_gl0_inv
	v_add_f64 v[4:5], v[12:13], v[34:35]
	v_add_f64 v[62:63], v[22:23], v[20:21]
	;; [unrolled: 1-line block ×5, first 2 shown]
	v_fma_f64 v[56:57], v[56:57], -0.5, v[10:11]
	v_fma_f64 v[10:11], v[30:31], s[12:13], v[46:47]
	v_fma_f64 v[14:15], v[30:31], s[0:1], v[46:47]
	v_add_f64 v[30:31], v[40:41], v[22:23]
	v_fma_f64 v[54:55], v[54:55], -0.5, v[8:9]
	v_fma_f64 v[8:9], v[32:33], s[0:1], v[28:29]
	v_fma_f64 v[12:13], v[32:33], s[12:13], v[28:29]
	v_add_f64 v[44:45], v[44:45], -v[18:19]
	v_lshlrev_b64 v[58:59], 4, v[1:2]
	v_add_nc_u32_e32 v1, s14, v1
	v_fma_f64 v[32:33], v[60:61], -0.5, v[38:39]
	v_add_f64 v[38:39], v[38:39], v[48:49]
	v_lshlrev_b64 v[28:29], 4, v[1:2]
	v_add_nc_u32_e32 v1, s14, v1
	v_fma_f64 v[40:41], v[62:63], -0.5, v[40:41]
	v_add_co_u32 v62, vcc_lo, s2, v50
	v_add_f64 v[16:17], v[16:17], v[36:37]
	v_add_f64 v[36:37], v[42:43], -v[36:37]
	v_add_co_ci_u32_e32 v63, vcc_lo, s3, v51, vcc_lo
	v_add_f64 v[50:51], v[22:23], -v[20:21]
	v_add_f64 v[22:23], v[30:31], v[20:21]
	v_add_f64 v[30:31], v[48:49], -v[52:53]
	v_add_co_u32 v48, vcc_lo, v62, v24
	v_add_co_ci_u32_e32 v49, vcc_lo, v63, v25, vcc_lo
	v_add_f64 v[18:19], v[34:35], v[18:19]
	v_lshlrev_b64 v[46:47], 4, v[1:2]
	v_add_nc_u32_e32 v1, s14, v1
	v_fma_f64 v[24:25], v[44:45], s[0:1], v[54:55]
	v_add_f64 v[20:21], v[38:39], v[52:53]
	v_add_co_u32 v52, vcc_lo, v62, v26
	v_add_co_ci_u32_e32 v53, vcc_lo, v63, v27, vcc_lo
	v_add_co_u32 v58, vcc_lo, v62, v58
	v_add_co_ci_u32_e32 v59, vcc_lo, v63, v59, vcc_lo
	;; [unrolled: 2-line block ×3, first 2 shown]
	v_fma_f64 v[28:29], v[36:37], s[12:13], v[56:57]
	v_fma_f64 v[26:27], v[44:45], s[12:13], v[54:55]
	;; [unrolled: 1-line block ×3, first 2 shown]
	v_lshlrev_b64 v[34:35], 4, v[1:2]
	v_add_nc_u32_e32 v1, s14, v1
	v_fma_f64 v[44:45], v[50:51], s[0:1], v[32:33]
	v_fma_f64 v[32:33], v[50:51], s[12:13], v[32:33]
	;; [unrolled: 1-line block ×4, first 2 shown]
	v_lshlrev_b64 v[42:43], 4, v[1:2]
	v_add_nc_u32_e32 v1, s14, v1
	v_add_co_u32 v40, vcc_lo, v62, v46
	v_add_co_ci_u32_e32 v41, vcc_lo, v63, v47, vcc_lo
	v_lshlrev_b64 v[38:39], 4, v[1:2]
	v_add_nc_u32_e32 v1, s14, v1
	v_add_co_u32 v46, vcc_lo, v62, v34
	v_add_co_ci_u32_e32 v47, vcc_lo, v63, v35, vcc_lo
	v_lshlrev_b64 v[54:55], 4, v[1:2]
	ds_write_b128 v3, v[4:7]
	ds_write_b128 v3, v[16:19] offset:432
	ds_write_b128 v3, v[8:11] offset:1296
	;; [unrolled: 1-line block ×3, first 2 shown]
	ds_write2_b64 v3, v[24:25], v[28:29] offset0:216 offset1:217
	ds_write2_b64 v0, v[26:27], v[36:37] offset0:122 offset1:123
	ds_write_b128 v3, v[20:23] offset:864
	ds_write2_b64 v0, v[44:45], v[50:51] offset0:14 offset1:15
	ds_write2_b64 v0, v[32:33], v[30:31] offset0:176 offset1:177
	s_waitcnt lgkmcnt(0)
	s_barrier
	buffer_gl0_inv
	ds_read_b128 v[0:3], v64
	ds_read_b128 v[4:7], v64 offset:432
	ds_read_b128 v[8:11], v64 offset:864
	ds_read_b128 v[12:15], v64 offset:1296
	ds_read_b128 v[16:19], v64 offset:1728
	ds_read_b128 v[20:23], v64 offset:2160
	ds_read_b128 v[24:27], v64 offset:2592
	ds_read_b128 v[28:31], v64 offset:3024
	ds_read_b128 v[32:35], v64 offset:3456
	v_add_co_u32 v36, vcc_lo, v62, v42
	v_add_co_ci_u32_e32 v37, vcc_lo, v63, v43, vcc_lo
	v_add_co_u32 v38, vcc_lo, v62, v38
	v_add_co_ci_u32_e32 v39, vcc_lo, v63, v39, vcc_lo
	;; [unrolled: 2-line block ×3, first 2 shown]
	s_waitcnt lgkmcnt(8)
	global_store_dwordx4 v[48:49], v[0:3], off
	s_waitcnt lgkmcnt(7)
	global_store_dwordx4 v[52:53], v[4:7], off
	;; [unrolled: 2-line block ×9, first 2 shown]
	s_endpgm
	.section	.rodata,"a",@progbits
	.p2align	6, 0x0
	.amdhsa_kernel fft_rtc_back_len243_factors_3_3_3_3_3_wgs_216_tpt_27_dp_op_CI_CI_sbrc_xy_z_diag
		.amdhsa_group_segment_fixed_size 0
		.amdhsa_private_segment_fixed_size 0
		.amdhsa_kernarg_size 104
		.amdhsa_user_sgpr_count 6
		.amdhsa_user_sgpr_private_segment_buffer 1
		.amdhsa_user_sgpr_dispatch_ptr 0
		.amdhsa_user_sgpr_queue_ptr 0
		.amdhsa_user_sgpr_kernarg_segment_ptr 1
		.amdhsa_user_sgpr_dispatch_id 0
		.amdhsa_user_sgpr_flat_scratch_init 0
		.amdhsa_user_sgpr_private_segment_size 0
		.amdhsa_wavefront_size32 1
		.amdhsa_uses_dynamic_stack 0
		.amdhsa_system_sgpr_private_segment_wavefront_offset 0
		.amdhsa_system_sgpr_workgroup_id_x 1
		.amdhsa_system_sgpr_workgroup_id_y 0
		.amdhsa_system_sgpr_workgroup_id_z 0
		.amdhsa_system_sgpr_workgroup_info 0
		.amdhsa_system_vgpr_workitem_id 0
		.amdhsa_next_free_vgpr 75
		.amdhsa_next_free_sgpr 28
		.amdhsa_reserve_vcc 1
		.amdhsa_reserve_flat_scratch 0
		.amdhsa_float_round_mode_32 0
		.amdhsa_float_round_mode_16_64 0
		.amdhsa_float_denorm_mode_32 3
		.amdhsa_float_denorm_mode_16_64 3
		.amdhsa_dx10_clamp 1
		.amdhsa_ieee_mode 1
		.amdhsa_fp16_overflow 0
		.amdhsa_workgroup_processor_mode 1
		.amdhsa_memory_ordered 1
		.amdhsa_forward_progress 0
		.amdhsa_shared_vgpr_count 0
		.amdhsa_exception_fp_ieee_invalid_op 0
		.amdhsa_exception_fp_denorm_src 0
		.amdhsa_exception_fp_ieee_div_zero 0
		.amdhsa_exception_fp_ieee_overflow 0
		.amdhsa_exception_fp_ieee_underflow 0
		.amdhsa_exception_fp_ieee_inexact 0
		.amdhsa_exception_int_div_zero 0
	.end_amdhsa_kernel
	.text
.Lfunc_end0:
	.size	fft_rtc_back_len243_factors_3_3_3_3_3_wgs_216_tpt_27_dp_op_CI_CI_sbrc_xy_z_diag, .Lfunc_end0-fft_rtc_back_len243_factors_3_3_3_3_3_wgs_216_tpt_27_dp_op_CI_CI_sbrc_xy_z_diag
                                        ; -- End function
	.section	.AMDGPU.csdata,"",@progbits
; Kernel info:
; codeLenInByte = 6536
; NumSgprs: 30
; NumVgprs: 75
; ScratchSize: 0
; MemoryBound: 0
; FloatMode: 240
; IeeeMode: 1
; LDSByteSize: 0 bytes/workgroup (compile time only)
; SGPRBlocks: 3
; VGPRBlocks: 9
; NumSGPRsForWavesPerEU: 30
; NumVGPRsForWavesPerEU: 75
; Occupancy: 12
; WaveLimiterHint : 1
; COMPUTE_PGM_RSRC2:SCRATCH_EN: 0
; COMPUTE_PGM_RSRC2:USER_SGPR: 6
; COMPUTE_PGM_RSRC2:TRAP_HANDLER: 0
; COMPUTE_PGM_RSRC2:TGID_X_EN: 1
; COMPUTE_PGM_RSRC2:TGID_Y_EN: 0
; COMPUTE_PGM_RSRC2:TGID_Z_EN: 0
; COMPUTE_PGM_RSRC2:TIDIG_COMP_CNT: 0
	.text
	.p2alignl 6, 3214868480
	.fill 48, 4, 3214868480
	.type	__hip_cuid_653673869169d706,@object ; @__hip_cuid_653673869169d706
	.section	.bss,"aw",@nobits
	.globl	__hip_cuid_653673869169d706
__hip_cuid_653673869169d706:
	.byte	0                               ; 0x0
	.size	__hip_cuid_653673869169d706, 1

	.ident	"AMD clang version 19.0.0git (https://github.com/RadeonOpenCompute/llvm-project roc-6.4.0 25133 c7fe45cf4b819c5991fe208aaa96edf142730f1d)"
	.section	".note.GNU-stack","",@progbits
	.addrsig
	.addrsig_sym __hip_cuid_653673869169d706
	.amdgpu_metadata
---
amdhsa.kernels:
  - .args:
      - .actual_access:  read_only
        .address_space:  global
        .offset:         0
        .size:           8
        .value_kind:     global_buffer
      - .offset:         8
        .size:           8
        .value_kind:     by_value
      - .actual_access:  read_only
        .address_space:  global
        .offset:         16
        .size:           8
        .value_kind:     global_buffer
      - .actual_access:  read_only
        .address_space:  global
        .offset:         24
        .size:           8
        .value_kind:     global_buffer
      - .actual_access:  read_only
        .address_space:  global
        .offset:         32
        .size:           8
        .value_kind:     global_buffer
      - .offset:         40
        .size:           8
        .value_kind:     by_value
      - .actual_access:  read_only
        .address_space:  global
        .offset:         48
        .size:           8
        .value_kind:     global_buffer
      - .actual_access:  read_only
        .address_space:  global
        .offset:         56
        .size:           8
        .value_kind:     global_buffer
      - .offset:         64
        .size:           4
        .value_kind:     by_value
      - .actual_access:  read_only
        .address_space:  global
        .offset:         72
        .size:           8
        .value_kind:     global_buffer
      - .actual_access:  read_only
        .address_space:  global
        .offset:         80
        .size:           8
        .value_kind:     global_buffer
      - .actual_access:  read_only
        .address_space:  global
        .offset:         88
        .size:           8
        .value_kind:     global_buffer
      - .actual_access:  write_only
        .address_space:  global
        .offset:         96
        .size:           8
        .value_kind:     global_buffer
    .group_segment_fixed_size: 0
    .kernarg_segment_align: 8
    .kernarg_segment_size: 104
    .language:       OpenCL C
    .language_version:
      - 2
      - 0
    .max_flat_workgroup_size: 216
    .name:           fft_rtc_back_len243_factors_3_3_3_3_3_wgs_216_tpt_27_dp_op_CI_CI_sbrc_xy_z_diag
    .private_segment_fixed_size: 0
    .sgpr_count:     30
    .sgpr_spill_count: 0
    .symbol:         fft_rtc_back_len243_factors_3_3_3_3_3_wgs_216_tpt_27_dp_op_CI_CI_sbrc_xy_z_diag.kd
    .uniform_work_group_size: 1
    .uses_dynamic_stack: false
    .vgpr_count:     75
    .vgpr_spill_count: 0
    .wavefront_size: 32
    .workgroup_processor_mode: 1
amdhsa.target:   amdgcn-amd-amdhsa--gfx1030
amdhsa.version:
  - 1
  - 2
...

	.end_amdgpu_metadata
